;; amdgpu-corpus repo=ROCm/rocFFT kind=compiled arch=gfx950 opt=O3
	.text
	.amdgcn_target "amdgcn-amd-amdhsa--gfx950"
	.amdhsa_code_object_version 6
	.protected	fft_rtc_fwd_len125_factors_5_5_5_wgs_250_tpt_25_sp_op_CI_CI_sbrc_xy_z_diag_dirReg ; -- Begin function fft_rtc_fwd_len125_factors_5_5_5_wgs_250_tpt_25_sp_op_CI_CI_sbrc_xy_z_diag_dirReg
	.globl	fft_rtc_fwd_len125_factors_5_5_5_wgs_250_tpt_25_sp_op_CI_CI_sbrc_xy_z_diag_dirReg
	.p2align	8
	.type	fft_rtc_fwd_len125_factors_5_5_5_wgs_250_tpt_25_sp_op_CI_CI_sbrc_xy_z_diag_dirReg,@function
fft_rtc_fwd_len125_factors_5_5_5_wgs_250_tpt_25_sp_op_CI_CI_sbrc_xy_z_diag_dirReg: ; @fft_rtc_fwd_len125_factors_5_5_5_wgs_250_tpt_25_sp_op_CI_CI_sbrc_xy_z_diag_dirReg
; %bb.0:
	s_load_dwordx8 s[4:11], s[0:1], 0x0
	v_mul_u32_u24_e32 v2, 0x20d, v0
	v_lshrrev_b32_e32 v22, 16, v2
	s_waitcnt lgkmcnt(0)
	s_load_dwordx4 s[12:15], s[8:9], 0x8
	s_mov_b32 s9, 0
	s_waitcnt lgkmcnt(0)
	s_add_i32 s3, s14, -1
	s_mul_hi_u32 s3, s3, 0xcccccccd
	s_lshr_b32 s3, s3, 3
	s_add_i32 s3, s3, 1
	s_mul_i32 s3, s3, s12
	v_cvt_f32_u32_e32 v1, s3
	s_load_dwordx4 s[12:15], s[0:1], 0x58
	s_load_dwordx2 s[20:21], s[0:1], 0x20
	s_sub_i32 s0, 0, s3
	s_load_dwordx4 s[24:27], s[10:11], 0x0
	s_load_dword s17, s[10:11], 0x10
	v_rcp_iflag_f32_e32 v1, v1
                                        ; kill: killed $sgpr20 killed $sgpr21
	s_nop 0
	v_mul_f32_e32 v1, 0x4f7ffffe, v1
	v_cvt_u32_f32_e32 v1, v1
	s_nop 0
	v_readfirstlane_b32 s1, v1
	s_mul_i32 s0, s0, s1
	s_mul_hi_u32 s0, s1, s0
	s_add_i32 s1, s1, s0
	s_mul_hi_u32 s0, s2, s1
	s_mul_i32 s1, s0, s3
	s_sub_i32 s1, s2, s1
	s_add_i32 s8, s0, 1
	s_sub_i32 s16, s1, s3
	s_cmp_ge_u32 s1, s3
	s_cselect_b32 s0, s8, s0
	s_cselect_b32 s1, s16, s1
	s_add_i32 s8, s0, 1
	s_cmp_ge_u32 s1, s3
	s_cselect_b32 s22, s8, s0
	s_mul_i32 s3, s22, s3
	s_sub_i32 s2, s2, s3
	s_mul_hi_u32 s3, s2, 0x51eb851f
	s_lshr_b32 s3, s3, 3
	s_lshl_b64 s[0:1], s[6:7], 3
	s_mul_i32 s6, s3, 25
	s_sub_i32 s2, s2, s6
	s_add_i32 s3, s3, s2
	s_mul_i32 s16, s2, 10
	s_mul_hi_u32 s2, s3, 0x10624dd3
	s_lshr_b32 s2, s2, 3
	s_mulk_i32 s2, 0x7d
	s_sub_i32 s7, s3, s2
	s_waitcnt lgkmcnt(0)
	s_mul_i32 s6, s16, s17
	s_mul_i32 s2, s7, s26
	s_add_i32 s8, s2, s6
	s_add_u32 s2, s10, s0
	s_addc_u32 s3, s11, s1
	s_load_dwordx2 s[2:3], s[2:3], 0x0
	v_mul_lo_u16_e32 v1, 0x7d, v22
	v_sub_u16_e32 v1, v0, v1
	v_mad_u64_u32 v[4:5], s[10:11], s24, v1, 0
	s_waitcnt lgkmcnt(0)
	s_mul_i32 s3, s3, s22
	s_mul_hi_u32 s6, s2, s22
	s_add_i32 s3, s6, s3
	s_add_u32 s0, s20, s0
	s_addc_u32 s1, s21, s1
	s_load_dwordx2 s[18:19], s[0:1], 0x0
	v_mov_b32_e32 v2, v5
	v_mad_u64_u32 v[2:3], s[0:1], s25, v1, v[2:3]
	s_mul_i32 s2, s2, s22
	s_waitcnt lgkmcnt(0)
	s_mul_i32 s0, s19, s22
	s_mul_hi_u32 s1, s18, s22
	s_add_i32 s19, s1, s0
	s_lshl_b64 s[0:1], s[2:3], 3
	s_add_u32 s2, s12, s0
	s_addc_u32 s3, s13, s1
	s_lshl_b64 s[0:1], s[8:9], 3
	s_add_u32 s0, s2, s0
	v_mov_b32_e32 v5, v2
	s_addc_u32 s1, s3, s1
	v_mul_lo_u32 v2, s17, v22
	v_mov_b32_e32 v3, 0
	v_lshl_add_u64 v[4:5], v[4:5], 3, s[0:1]
	s_lshl_b32 s0, s17, 1
	v_lshl_add_u64 v[6:7], v[2:3], 3, v[4:5]
	v_add_u32_e32 v2, s0, v2
	v_lshl_add_u64 v[8:9], v[2:3], 3, v[4:5]
	v_add_u32_e32 v2, s0, v2
	;; [unrolled: 2-line block ×3, first 2 shown]
	v_lshl_add_u64 v[12:13], v[2:3], 3, v[4:5]
	global_load_dwordx2 v[14:15], v[6:7], off
	global_load_dwordx2 v[16:17], v[8:9], off
	;; [unrolled: 1-line block ×4, first 2 shown]
	v_add_u32_e32 v2, s0, v2
	v_lshl_add_u64 v[4:5], v[2:3], 3, v[4:5]
	global_load_dwordx2 v[6:7], v[4:5], off
	v_mul_u32_u24_e32 v2, 0x199a, v0
	v_lshrrev_b32_e32 v2, 16, v2
	v_mul_lo_u16_e32 v4, 10, v2
	v_sub_u16_e32 v4, v0, v4
	v_mul_u32_u24_e32 v8, 0x50, v2
	v_mul_lo_u16_e32 v1, 10, v1
	v_lshlrev_b32_e32 v35, 3, v4
	v_lshlrev_b32_e32 v5, 3, v22
	;; [unrolled: 1-line block ×3, first 2 shown]
	v_add3_u32 v36, 0, v8, v35
	s_load_dwordx4 s[0:3], s[20:21], 0x0
	v_add3_u32 v8, 0, v1, v5
	v_add_u32_e32 v10, 0xf80, v36
	s_waitcnt lgkmcnt(0)
	s_load_dword s3, s[20:21], 0x10
	v_add3_u32 v1, 0, v5, v1
	s_movk_i32 s11, 0x140
	s_mov_b32 s10, 0x3f737871
	s_mov_b32 s8, 0x3f167918
	s_mov_b32 s6, 0x3e9e377a
	v_mul_lo_u16_e32 v34, 52, v2
	v_mad_u32_u24 v5, v2, s11, v36
	v_add_u32_e32 v37, 0x1760, v36
	v_mul_u32_u24_e32 v0, 0x107, v0
	s_mov_b32 s17, s9
	s_mul_i32 s18, s18, s22
	s_waitcnt vmcnt(4)
	ds_write_b64 v8, v[14:15]
	s_waitcnt vmcnt(2)
	ds_write2_b64 v1, v[16:17], v[18:19] offset0:2 offset1:4
	s_waitcnt vmcnt(0)
	ds_write2_b64 v1, v[20:21], v[6:7] offset0:6 offset1:8
	s_waitcnt lgkmcnt(0)
	s_barrier
	ds_read2_b64 v[6:9], v36 offset1:250
	ds_read2_b64 v[10:13], v10 offset0:4 offset1:254
	ds_read_b64 v[14:15], v36 offset:8000
	v_lshrrev_b16_e32 v1, 8, v34
	s_waitcnt lgkmcnt(0)
	v_pk_add_f32 v[16:17], v[6:7], v[8:9]
	v_pk_add_f32 v[18:19], v[10:11], v[12:13]
	v_pk_add_f32 v[20:21], v[8:9], v[14:15] neg_lo:[0,1] neg_hi:[0,1]
	v_pk_add_f32 v[22:23], v[10:11], v[12:13] neg_lo:[0,1] neg_hi:[0,1]
	;; [unrolled: 1-line block ×3, first 2 shown]
	v_pk_add_f32 v[28:29], v[8:9], v[14:15]
	v_pk_add_f32 v[8:9], v[10:11], v[8:9] neg_lo:[0,1] neg_hi:[0,1]
	v_pk_add_f32 v[10:11], v[16:17], v[10:11]
	v_pk_fma_f32 v[16:17], v[18:19], 0.5, v[6:7] op_sel_hi:[1,0,1] neg_lo:[1,0,0] neg_hi:[1,0,0]
	v_pk_mul_f32 v[18:19], v[20:21], s[10:11] op_sel_hi:[1,0]
	v_pk_add_f32 v[26:27], v[14:15], v[12:13] neg_lo:[0,1] neg_hi:[0,1]
	v_pk_add_f32 v[30:31], v[12:13], v[14:15] neg_lo:[0,1] neg_hi:[0,1]
	v_pk_mul_f32 v[32:33], v[22:23], s[8:9] op_sel_hi:[1,0]
	v_pk_fma_f32 v[6:7], v[28:29], 0.5, v[6:7] op_sel_hi:[1,0,1] neg_lo:[1,0,0] neg_hi:[1,0,0]
	v_pk_mul_f32 v[22:23], v[22:23], s[10:11] op_sel_hi:[1,0]
	v_pk_add_f32 v[10:11], v[10:11], v[12:13]
	v_pk_add_f32 v[12:13], v[16:17], v[18:19] op_sel:[0,1] op_sel_hi:[1,0]
	v_pk_add_f32 v[16:17], v[16:17], v[18:19] op_sel:[0,1] op_sel_hi:[1,0] neg_lo:[0,1] neg_hi:[0,1]
	v_pk_mul_f32 v[20:21], v[20:21], s[8:9] op_sel_hi:[1,0]
	v_pk_add_f32 v[18:19], v[6:7], v[22:23] op_sel:[0,1] op_sel_hi:[1,0] neg_lo:[0,1] neg_hi:[0,1]
	v_pk_add_f32 v[6:7], v[6:7], v[22:23] op_sel:[0,1] op_sel_hi:[1,0]
	v_pk_add_f32 v[10:11], v[10:11], v[14:15]
	v_pk_add_f32 v[14:15], v[16:17], v[32:33] op_sel:[0,1] op_sel_hi:[1,0] neg_lo:[0,1] neg_hi:[0,1]
	v_pk_add_f32 v[12:13], v[12:13], v[32:33] op_sel:[0,1] op_sel_hi:[1,0]
	v_pk_add_f32 v[24:25], v[24:25], v[26:27]
	v_pk_add_f32 v[6:7], v[6:7], v[20:21] op_sel:[0,1] op_sel_hi:[1,0] neg_lo:[0,1] neg_hi:[0,1]
	v_pk_add_f32 v[16:17], v[18:19], v[20:21] op_sel:[0,1] op_sel_hi:[1,0]
	v_mov_b32_e32 v18, v12
	v_mov_b32_e32 v19, v15
	v_pk_add_f32 v[8:9], v[8:9], v[30:31]
	v_mov_b32_e32 v20, v16
	v_mov_b32_e32 v21, v7
	;; [unrolled: 1-line block ×4, first 2 shown]
	v_pk_fma_f32 v[12:13], v[24:25], s[6:7], v[18:19] op_sel_hi:[1,0,1]
	s_barrier
	v_pk_fma_f32 v[16:17], v[8:9], s[6:7], v[20:21] op_sel_hi:[1,0,1]
	v_pk_fma_f32 v[6:7], v[8:9], s[6:7], v[6:7] op_sel_hi:[1,0,1]
	;; [unrolled: 1-line block ×3, first 2 shown]
	ds_write2_b64 v5, v[10:11], v[12:13] offset1:10
	ds_write2_b64 v5, v[16:17], v[6:7] offset0:20 offset1:30
	ds_write_b64 v5, v[8:9] offset:320
	v_mul_lo_u16_e32 v5, 5, v1
	v_sub_u16_e32 v5, v2, v5
	v_and_b32_e32 v5, 0xff, v5
	v_lshlrev_b32_e32 v14, 5, v5
	s_waitcnt lgkmcnt(0)
	s_barrier
	global_load_dwordx4 v[6:9], v14, s[4:5]
	global_load_dwordx4 v[10:13], v14, s[4:5] offset:16
	v_mul_lo_u16_e32 v15, 21, v2
	v_lshrrev_b16_e32 v15, 9, v15
	v_mul_lo_u16_e32 v15, 25, v15
	v_mov_b32_e32 v14, 5
	v_sub_u16_e32 v2, v2, v15
	v_add_u32_e32 v34, 0x7c0, v36
	v_lshlrev_b32_sdwa v38, v14, v2 dst_sel:DWORD dst_unused:UNUSED_PAD src0_sel:DWORD src1_sel:BYTE_0
	ds_read2_b32 v[22:23], v36 offset1:1
	ds_read2_b64 v[14:17], v34 offset0:2 offset1:252
	ds_read2_b64 v[18:21], v37 offset0:2 offset1:252
	v_mad_u32_u24 v1, v1, 25, v5
	v_mul_u32_u24_e32 v1, 0x50, v1
	v_add3_u32 v1, 0, v1, v35
	s_waitcnt lgkmcnt(0)
	s_barrier
	v_mov_b32_e32 v5, v3
	s_waitcnt vmcnt(1)
	v_pk_mul_f32 v[24:25], v[6:7], v[14:15] op_sel:[0,1]
	v_pk_mul_f32 v[26:27], v[8:9], v[16:17] op_sel:[0,1]
	s_waitcnt vmcnt(0)
	v_pk_mul_f32 v[28:29], v[10:11], v[18:19] op_sel:[0,1]
	v_pk_mul_f32 v[30:31], v[12:13], v[20:21] op_sel:[0,1]
	v_pk_fma_f32 v[32:33], v[6:7], v[14:15], v[24:25] op_sel:[0,0,1] op_sel_hi:[1,1,0] neg_lo:[0,0,1] neg_hi:[0,0,1]
	v_pk_fma_f32 v[6:7], v[6:7], v[14:15], v[24:25] op_sel:[0,0,1] op_sel_hi:[1,0,0]
	v_pk_fma_f32 v[14:15], v[8:9], v[16:17], v[26:27] op_sel:[0,0,1] op_sel_hi:[1,1,0] neg_lo:[0,0,1] neg_hi:[0,0,1]
	v_pk_fma_f32 v[8:9], v[8:9], v[16:17], v[26:27] op_sel:[0,0,1] op_sel_hi:[1,0,0]
	;; [unrolled: 2-line block ×4, first 2 shown]
	v_mov_b32_e32 v33, v7
	v_mov_b32_e32 v15, v9
	;; [unrolled: 1-line block ×4, first 2 shown]
	v_pk_add_f32 v[6:7], v[32:33], v[22:23]
	v_pk_add_f32 v[8:9], v[14:15], v[16:17]
	v_pk_add_f32 v[10:11], v[32:33], v[18:19] neg_lo:[0,1] neg_hi:[0,1]
	v_pk_add_f32 v[12:13], v[14:15], v[16:17] neg_lo:[0,1] neg_hi:[0,1]
	v_pk_add_f32 v[26:27], v[32:33], v[18:19]
	v_pk_add_f32 v[20:21], v[32:33], v[14:15] neg_lo:[0,1] neg_hi:[0,1]
	v_pk_add_f32 v[28:29], v[14:15], v[32:33] neg_lo:[0,1] neg_hi:[0,1]
	v_pk_add_f32 v[6:7], v[6:7], v[14:15]
	v_pk_fma_f32 v[8:9], v[8:9], 0.5, v[22:23] op_sel_hi:[1,0,1] neg_lo:[1,0,0] neg_hi:[1,0,0]
	v_pk_mul_f32 v[14:15], v[10:11], s[10:11] op_sel_hi:[1,0]
	v_pk_mul_f32 v[32:33], v[12:13], s[8:9] op_sel_hi:[1,0]
	v_pk_fma_f32 v[22:23], v[26:27], 0.5, v[22:23] op_sel_hi:[1,0,1] neg_lo:[1,0,0] neg_hi:[1,0,0]
	v_pk_mul_f32 v[12:13], v[12:13], s[10:11] op_sel_hi:[1,0]
	v_pk_add_f32 v[24:25], v[18:19], v[16:17] neg_lo:[0,1] neg_hi:[0,1]
	v_pk_add_f32 v[30:31], v[16:17], v[18:19] neg_lo:[0,1] neg_hi:[0,1]
	v_pk_mul_f32 v[10:11], v[10:11], s[8:9] op_sel_hi:[1,0]
	v_pk_add_f32 v[6:7], v[6:7], v[16:17]
	v_pk_add_f32 v[16:17], v[8:9], v[14:15] op_sel:[0,1] op_sel_hi:[1,0]
	v_pk_add_f32 v[8:9], v[8:9], v[14:15] op_sel:[0,1] op_sel_hi:[1,0] neg_lo:[0,1] neg_hi:[0,1]
	v_pk_add_f32 v[14:15], v[22:23], v[12:13] op_sel:[0,1] op_sel_hi:[1,0] neg_lo:[0,1] neg_hi:[0,1]
	v_pk_add_f32 v[12:13], v[22:23], v[12:13] op_sel:[0,1] op_sel_hi:[1,0]
	v_pk_add_f32 v[8:9], v[8:9], v[32:33] op_sel:[0,1] op_sel_hi:[1,0] neg_lo:[0,1] neg_hi:[0,1]
	v_pk_add_f32 v[16:17], v[16:17], v[32:33] op_sel:[0,1] op_sel_hi:[1,0]
	;; [unrolled: 2-line block ×3, first 2 shown]
	v_pk_add_f32 v[20:21], v[20:21], v[24:25]
	v_pk_add_f32 v[24:25], v[28:29], v[30:31]
	;; [unrolled: 1-line block ×3, first 2 shown]
	v_mov_b32_e32 v14, v16
	v_mov_b32_e32 v15, v9
	;; [unrolled: 1-line block ×6, first 2 shown]
	v_pk_fma_f32 v[10:11], v[20:21], s[6:7], v[14:15] op_sel_hi:[1,0,1]
	v_pk_fma_f32 v[12:13], v[24:25], s[6:7], v[12:13] op_sel_hi:[1,0,1]
	;; [unrolled: 1-line block ×4, first 2 shown]
	ds_write2_b64 v1, v[6:7], v[10:11] offset1:50
	ds_write2_b64 v1, v[14:15], v[12:13] offset0:100 offset1:150
	ds_write_b64 v1, v[8:9] offset:1600
	s_waitcnt lgkmcnt(0)
	s_barrier
	global_load_dwordx4 v[6:9], v38, s[4:5] offset:160
	global_load_dwordx4 v[10:13], v38, s[4:5] offset:176
	s_movk_i32 s4, 0x7d
	v_mul_lo_u16_sdwa v0, v0, s4 dst_sel:DWORD dst_unused:UNUSED_PAD src0_sel:WORD_1 src1_sel:DWORD
	v_add_u32_sdwa v2, v2, v0 dst_sel:DWORD dst_unused:UNUSED_PAD src0_sel:BYTE_0 src1_sel:DWORD
	v_lshl_add_u64 v[0:1], s[16:17], 0, v[4:5]
	v_mul_lo_u32 v4, v1, s0
	v_mul_lo_u32 v5, v0, s1
	v_mad_u64_u32 v[0:1], s[0:1], v0, s0, 0
	s_lshl_b64 s[0:1], s[18:19], 3
	s_mov_b32 s5, s9
	s_mul_i32 s4, s7, s3
	s_add_u32 s3, s14, s0
	s_addc_u32 s7, s15, s1
	s_lshl_b64 s[0:1], s[4:5], 3
	s_add_u32 s0, s3, s0
	v_add3_u32 v1, v1, v5, v4
	s_addc_u32 s1, s7, s1
	s_mul_i32 s9, s2, 25
	v_lshl_add_u64 v[0:1], v[0:1], 3, s[0:1]
	v_mul_lo_u32 v2, v2, s2
	v_lshl_add_u64 v[4:5], v[2:3], 3, v[0:1]
	v_add_u32_e32 v2, s9, v2
	ds_read2_b64 v[14:17], v34 offset0:2 offset1:252
	ds_read2_b64 v[18:21], v37 offset0:2 offset1:252
	v_lshl_add_u64 v[22:23], v[2:3], 3, v[0:1]
	v_add_u32_e32 v2, s9, v2
	v_lshl_add_u64 v[24:25], v[2:3], 3, v[0:1]
	v_add_u32_e32 v2, s9, v2
	;; [unrolled: 2-line block ×3, first 2 shown]
	v_lshl_add_u64 v[0:1], v[2:3], 3, v[0:1]
	ds_read2_b32 v[2:3], v36 offset1:1
	s_waitcnt vmcnt(1) lgkmcnt(2)
	v_pk_mul_f32 v[28:29], v[6:7], v[14:15] op_sel:[0,1]
	v_pk_mul_f32 v[30:31], v[8:9], v[16:17] op_sel:[0,1]
	s_waitcnt vmcnt(0) lgkmcnt(1)
	v_pk_mul_f32 v[32:33], v[10:11], v[18:19] op_sel:[0,1]
	v_pk_mul_f32 v[34:35], v[12:13], v[20:21] op_sel:[0,1]
	v_pk_fma_f32 v[36:37], v[6:7], v[14:15], v[28:29] op_sel:[0,0,1] op_sel_hi:[1,1,0] neg_lo:[0,0,1] neg_hi:[0,0,1]
	v_pk_fma_f32 v[6:7], v[6:7], v[14:15], v[28:29] op_sel:[0,0,1] op_sel_hi:[1,0,0]
	v_pk_fma_f32 v[14:15], v[8:9], v[16:17], v[30:31] op_sel:[0,0,1] op_sel_hi:[1,1,0] neg_lo:[0,0,1] neg_hi:[0,0,1]
	v_pk_fma_f32 v[8:9], v[8:9], v[16:17], v[30:31] op_sel:[0,0,1] op_sel_hi:[1,0,0]
	;; [unrolled: 2-line block ×4, first 2 shown]
	v_mov_b32_e32 v15, v9
	v_mov_b32_e32 v17, v11
	;; [unrolled: 1-line block ×4, first 2 shown]
	v_pk_add_f32 v[6:7], v[14:15], v[16:17]
	v_pk_add_f32 v[8:9], v[36:37], v[18:19] neg_lo:[0,1] neg_hi:[0,1]
	s_waitcnt lgkmcnt(0)
	v_pk_add_f32 v[28:29], v[36:37], v[2:3]
	v_pk_add_f32 v[30:31], v[36:37], v[18:19]
	v_pk_fma_f32 v[6:7], v[6:7], 0.5, v[2:3] op_sel_hi:[1,0,1] neg_lo:[1,0,0] neg_hi:[1,0,0]
	v_pk_add_f32 v[10:11], v[14:15], v[16:17] neg_lo:[0,1] neg_hi:[0,1]
	v_pk_add_f32 v[12:13], v[36:37], v[14:15] neg_lo:[0,1] neg_hi:[0,1]
	;; [unrolled: 1-line block ×3, first 2 shown]
	v_pk_add_f32 v[14:15], v[28:29], v[14:15]
	v_pk_fma_f32 v[2:3], v[30:31], 0.5, v[2:3] op_sel_hi:[1,0,1] neg_lo:[1,0,0] neg_hi:[1,0,0]
	v_pk_fma_f32 v[28:29], v[8:9], s[10:11], v[6:7] op_sel:[1,0,0] op_sel_hi:[0,0,1] neg_lo:[1,0,0] neg_hi:[1,0,0]
	v_pk_fma_f32 v[6:7], v[8:9], s[10:11], v[6:7] op_sel:[1,0,0] op_sel_hi:[0,0,1]
	v_pk_add_f32 v[20:21], v[18:19], v[16:17] neg_lo:[0,1] neg_hi:[0,1]
	v_pk_add_f32 v[34:35], v[16:17], v[18:19] neg_lo:[0,1] neg_hi:[0,1]
	v_pk_add_f32 v[14:15], v[14:15], v[16:17]
	v_pk_fma_f32 v[16:17], v[10:11], s[10:11], v[2:3] op_sel:[1,0,0] op_sel_hi:[0,0,1]
	v_pk_fma_f32 v[2:3], v[10:11], s[10:11], v[2:3] op_sel:[1,0,0] op_sel_hi:[0,0,1] neg_lo:[1,0,0] neg_hi:[1,0,0]
	v_pk_fma_f32 v[6:7], v[10:11], s[8:9], v[6:7] op_sel:[1,0,0] op_sel_hi:[0,0,1]
	v_pk_fma_f32 v[10:11], v[10:11], s[8:9], v[28:29] op_sel:[1,0,0] op_sel_hi:[0,0,1] neg_lo:[1,0,0] neg_hi:[1,0,0]
	v_pk_add_f32 v[12:13], v[12:13], v[20:21]
	v_pk_add_f32 v[14:15], v[14:15], v[18:19]
	v_pk_fma_f32 v[2:3], v[8:9], s[8:9], v[2:3] op_sel:[1,0,0] op_sel_hi:[0,0,1]
	v_pk_fma_f32 v[8:9], v[8:9], s[8:9], v[16:17] op_sel:[1,0,0] op_sel_hi:[0,0,1] neg_lo:[1,0,0] neg_hi:[1,0,0]
	v_mov_b32_e32 v17, v7
	v_mov_b32_e32 v7, v11
	v_pk_add_f32 v[20:21], v[32:33], v[34:35]
	v_mov_b32_e32 v16, v10
	global_store_dwordx2 v[4:5], v[14:15], off
	v_mov_b32_e32 v4, v8
	v_mov_b32_e32 v5, v3
	;; [unrolled: 1-line block ×3, first 2 shown]
	v_pk_fma_f32 v[6:7], v[12:13], s[6:7], v[6:7] op_sel_hi:[1,0,1]
	v_pk_fma_f32 v[8:9], v[12:13], s[6:7], v[16:17] op_sel_hi:[1,0,1]
	;; [unrolled: 1-line block ×4, first 2 shown]
	global_store_dwordx2 v[22:23], v[6:7], off
	global_store_dwordx2 v[24:25], v[2:3], off
	;; [unrolled: 1-line block ×4, first 2 shown]
	s_endpgm
	.section	.rodata,"a",@progbits
	.p2align	6, 0x0
	.amdhsa_kernel fft_rtc_fwd_len125_factors_5_5_5_wgs_250_tpt_25_sp_op_CI_CI_sbrc_xy_z_diag_dirReg
		.amdhsa_group_segment_fixed_size 0
		.amdhsa_private_segment_fixed_size 0
		.amdhsa_kernarg_size 104
		.amdhsa_user_sgpr_count 2
		.amdhsa_user_sgpr_dispatch_ptr 0
		.amdhsa_user_sgpr_queue_ptr 0
		.amdhsa_user_sgpr_kernarg_segment_ptr 1
		.amdhsa_user_sgpr_dispatch_id 0
		.amdhsa_user_sgpr_kernarg_preload_length 0
		.amdhsa_user_sgpr_kernarg_preload_offset 0
		.amdhsa_user_sgpr_private_segment_size 0
		.amdhsa_uses_dynamic_stack 0
		.amdhsa_enable_private_segment 0
		.amdhsa_system_sgpr_workgroup_id_x 1
		.amdhsa_system_sgpr_workgroup_id_y 0
		.amdhsa_system_sgpr_workgroup_id_z 0
		.amdhsa_system_sgpr_workgroup_info 0
		.amdhsa_system_vgpr_workitem_id 0
		.amdhsa_next_free_vgpr 39
		.amdhsa_next_free_sgpr 28
		.amdhsa_accum_offset 40
		.amdhsa_reserve_vcc 0
		.amdhsa_float_round_mode_32 0
		.amdhsa_float_round_mode_16_64 0
		.amdhsa_float_denorm_mode_32 3
		.amdhsa_float_denorm_mode_16_64 3
		.amdhsa_dx10_clamp 1
		.amdhsa_ieee_mode 1
		.amdhsa_fp16_overflow 0
		.amdhsa_tg_split 0
		.amdhsa_exception_fp_ieee_invalid_op 0
		.amdhsa_exception_fp_denorm_src 0
		.amdhsa_exception_fp_ieee_div_zero 0
		.amdhsa_exception_fp_ieee_overflow 0
		.amdhsa_exception_fp_ieee_underflow 0
		.amdhsa_exception_fp_ieee_inexact 0
		.amdhsa_exception_int_div_zero 0
	.end_amdhsa_kernel
	.text
.Lfunc_end0:
	.size	fft_rtc_fwd_len125_factors_5_5_5_wgs_250_tpt_25_sp_op_CI_CI_sbrc_xy_z_diag_dirReg, .Lfunc_end0-fft_rtc_fwd_len125_factors_5_5_5_wgs_250_tpt_25_sp_op_CI_CI_sbrc_xy_z_diag_dirReg
                                        ; -- End function
	.section	.AMDGPU.csdata,"",@progbits
; Kernel info:
; codeLenInByte = 2252
; NumSgprs: 34
; NumVgprs: 39
; NumAgprs: 0
; TotalNumVgprs: 39
; ScratchSize: 0
; MemoryBound: 0
; FloatMode: 240
; IeeeMode: 1
; LDSByteSize: 0 bytes/workgroup (compile time only)
; SGPRBlocks: 4
; VGPRBlocks: 4
; NumSGPRsForWavesPerEU: 34
; NumVGPRsForWavesPerEU: 39
; AccumOffset: 40
; Occupancy: 8
; WaveLimiterHint : 1
; COMPUTE_PGM_RSRC2:SCRATCH_EN: 0
; COMPUTE_PGM_RSRC2:USER_SGPR: 2
; COMPUTE_PGM_RSRC2:TRAP_HANDLER: 0
; COMPUTE_PGM_RSRC2:TGID_X_EN: 1
; COMPUTE_PGM_RSRC2:TGID_Y_EN: 0
; COMPUTE_PGM_RSRC2:TGID_Z_EN: 0
; COMPUTE_PGM_RSRC2:TIDIG_COMP_CNT: 0
; COMPUTE_PGM_RSRC3_GFX90A:ACCUM_OFFSET: 9
; COMPUTE_PGM_RSRC3_GFX90A:TG_SPLIT: 0
	.text
	.p2alignl 6, 3212836864
	.fill 256, 4, 3212836864
	.type	__hip_cuid_61f385b746cabdd8,@object ; @__hip_cuid_61f385b746cabdd8
	.section	.bss,"aw",@nobits
	.globl	__hip_cuid_61f385b746cabdd8
__hip_cuid_61f385b746cabdd8:
	.byte	0                               ; 0x0
	.size	__hip_cuid_61f385b746cabdd8, 1

	.ident	"AMD clang version 19.0.0git (https://github.com/RadeonOpenCompute/llvm-project roc-6.4.0 25133 c7fe45cf4b819c5991fe208aaa96edf142730f1d)"
	.section	".note.GNU-stack","",@progbits
	.addrsig
	.addrsig_sym __hip_cuid_61f385b746cabdd8
	.amdgpu_metadata
---
amdhsa.kernels:
  - .agpr_count:     0
    .args:
      - .actual_access:  read_only
        .address_space:  global
        .offset:         0
        .size:           8
        .value_kind:     global_buffer
      - .offset:         8
        .size:           8
        .value_kind:     by_value
      - .actual_access:  read_only
        .address_space:  global
        .offset:         16
        .size:           8
        .value_kind:     global_buffer
      - .actual_access:  read_only
        .address_space:  global
        .offset:         24
        .size:           8
        .value_kind:     global_buffer
      - .actual_access:  read_only
        .address_space:  global
        .offset:         32
        .size:           8
        .value_kind:     global_buffer
      - .offset:         40
        .size:           8
        .value_kind:     by_value
      - .actual_access:  read_only
        .address_space:  global
        .offset:         48
        .size:           8
        .value_kind:     global_buffer
      - .actual_access:  read_only
        .address_space:  global
        .offset:         56
        .size:           8
        .value_kind:     global_buffer
      - .offset:         64
        .size:           4
        .value_kind:     by_value
      - .actual_access:  read_only
        .address_space:  global
        .offset:         72
        .size:           8
        .value_kind:     global_buffer
      - .actual_access:  read_only
        .address_space:  global
        .offset:         80
        .size:           8
        .value_kind:     global_buffer
      - .actual_access:  read_only
        .address_space:  global
        .offset:         88
        .size:           8
        .value_kind:     global_buffer
      - .actual_access:  write_only
        .address_space:  global
        .offset:         96
        .size:           8
        .value_kind:     global_buffer
    .group_segment_fixed_size: 0
    .kernarg_segment_align: 8
    .kernarg_segment_size: 104
    .language:       OpenCL C
    .language_version:
      - 2
      - 0
    .max_flat_workgroup_size: 250
    .name:           fft_rtc_fwd_len125_factors_5_5_5_wgs_250_tpt_25_sp_op_CI_CI_sbrc_xy_z_diag_dirReg
    .private_segment_fixed_size: 0
    .sgpr_count:     34
    .sgpr_spill_count: 0
    .symbol:         fft_rtc_fwd_len125_factors_5_5_5_wgs_250_tpt_25_sp_op_CI_CI_sbrc_xy_z_diag_dirReg.kd
    .uniform_work_group_size: 1
    .uses_dynamic_stack: false
    .vgpr_count:     39
    .vgpr_spill_count: 0
    .wavefront_size: 64
amdhsa.target:   amdgcn-amd-amdhsa--gfx950
amdhsa.version:
  - 1
  - 2
...

	.end_amdgpu_metadata
